;; amdgpu-corpus repo=zjin-lcf/HeCBench kind=compiled arch=gfx1250 opt=O3
	.amdgcn_target "amdgcn-amd-amdhsa--gfx1250"
	.amdhsa_code_object_version 6
	.section	.text._Z19wiAtomicOnGlobalMemIdEvPT_i,"axG",@progbits,_Z19wiAtomicOnGlobalMemIdEvPT_i,comdat
	.protected	_Z19wiAtomicOnGlobalMemIdEvPT_i ; -- Begin function _Z19wiAtomicOnGlobalMemIdEvPT_i
	.globl	_Z19wiAtomicOnGlobalMemIdEvPT_i
	.p2align	8
	.type	_Z19wiAtomicOnGlobalMemIdEvPT_i,@function
_Z19wiAtomicOnGlobalMemIdEvPT_i:        ; @_Z19wiAtomicOnGlobalMemIdEvPT_i
; %bb.0:
	s_clause 0x1
	s_load_b32 s3, s[0:1], 0x1c
	s_load_b32 s2, s[0:1], 0x8
	s_bfe_u32 s4, ttmp6, 0x4000c
	s_and_b32 s5, ttmp6, 15
	s_add_co_i32 s4, s4, 1
	s_getreg_b32 s6, hwreg(HW_REG_IB_STS2, 6, 4)
	s_mul_i32 s4, ttmp9, s4
	s_delay_alu instid0(SALU_CYCLE_1) | instskip(SKIP_4) | instid1(SALU_CYCLE_1)
	s_add_co_i32 s5, s5, s4
	s_wait_kmcnt 0x0
	s_and_b32 s3, s3, 0xffff
	s_cmp_eq_u32 s6, 0
	s_cselect_b32 s4, ttmp9, s5
	v_mad_u32 v0, s4, s3, v0
	s_mov_b32 s3, exec_lo
	s_delay_alu instid0(VALU_DEP_1) | instskip(NEXT) | instid1(VALU_DEP_1)
	v_mul_lo_u32 v2, v0, s2
	v_add_nc_u32_e32 v1, s2, v2
	s_delay_alu instid0(VALU_DEP_1)
	v_cmpx_lt_u32_e64 v2, v1
	s_cbranch_execz .LBB0_3
; %bb.1:
	s_load_b64 s[0:1], s[0:1], 0x0
	v_mov_b32_e32 v1, 0
	s_wait_kmcnt 0x0
	s_delay_alu instid0(VALU_DEP_1)
	v_lshl_add_u64 v[0:1], v[0:1], 3, s[0:1]
.LBB0_2:                                ; =>This Inner Loop Header: Depth=1
	v_dual_add_nc_u32 v2, 1, v2 :: v_dual_bitop2_b32 v3, 1, v2 bitop3:0x40
	s_add_co_i32 s2, s2, -1
	s_delay_alu instid0(SALU_CYCLE_1) | instskip(SKIP_1) | instid1(VALU_DEP_1)
	s_cmp_eq_u32 s2, 0
	s_wait_xcnt 0x0
	v_cvt_f64_u32_e32 v[4:5], v3
	global_atomic_add_f64 v[0:1], v[4:5], off scope:SCOPE_DEV
	s_cbranch_scc0 .LBB0_2
.LBB0_3:
	s_endpgm
	.section	.rodata,"a",@progbits
	.p2align	6, 0x0
	.amdhsa_kernel _Z19wiAtomicOnGlobalMemIdEvPT_i
		.amdhsa_group_segment_fixed_size 0
		.amdhsa_private_segment_fixed_size 0
		.amdhsa_kernarg_size 272
		.amdhsa_user_sgpr_count 2
		.amdhsa_user_sgpr_dispatch_ptr 0
		.amdhsa_user_sgpr_queue_ptr 0
		.amdhsa_user_sgpr_kernarg_segment_ptr 1
		.amdhsa_user_sgpr_dispatch_id 0
		.amdhsa_user_sgpr_kernarg_preload_length 0
		.amdhsa_user_sgpr_kernarg_preload_offset 0
		.amdhsa_user_sgpr_private_segment_size 0
		.amdhsa_wavefront_size32 1
		.amdhsa_uses_dynamic_stack 0
		.amdhsa_enable_private_segment 0
		.amdhsa_system_sgpr_workgroup_id_x 1
		.amdhsa_system_sgpr_workgroup_id_y 0
		.amdhsa_system_sgpr_workgroup_id_z 0
		.amdhsa_system_sgpr_workgroup_info 0
		.amdhsa_system_vgpr_workitem_id 0
		.amdhsa_next_free_vgpr 6
		.amdhsa_next_free_sgpr 7
		.amdhsa_named_barrier_count 0
		.amdhsa_reserve_vcc 0
		.amdhsa_float_round_mode_32 0
		.amdhsa_float_round_mode_16_64 0
		.amdhsa_float_denorm_mode_32 3
		.amdhsa_float_denorm_mode_16_64 3
		.amdhsa_fp16_overflow 0
		.amdhsa_memory_ordered 1
		.amdhsa_forward_progress 1
		.amdhsa_inst_pref_size 2
		.amdhsa_round_robin_scheduling 0
		.amdhsa_exception_fp_ieee_invalid_op 0
		.amdhsa_exception_fp_denorm_src 0
		.amdhsa_exception_fp_ieee_div_zero 0
		.amdhsa_exception_fp_ieee_overflow 0
		.amdhsa_exception_fp_ieee_underflow 0
		.amdhsa_exception_fp_ieee_inexact 0
		.amdhsa_exception_int_div_zero 0
	.end_amdhsa_kernel
	.section	.text._Z19wiAtomicOnGlobalMemIdEvPT_i,"axG",@progbits,_Z19wiAtomicOnGlobalMemIdEvPT_i,comdat
.Lfunc_end0:
	.size	_Z19wiAtomicOnGlobalMemIdEvPT_i, .Lfunc_end0-_Z19wiAtomicOnGlobalMemIdEvPT_i
                                        ; -- End function
	.set _Z19wiAtomicOnGlobalMemIdEvPT_i.num_vgpr, 6
	.set _Z19wiAtomicOnGlobalMemIdEvPT_i.num_agpr, 0
	.set _Z19wiAtomicOnGlobalMemIdEvPT_i.numbered_sgpr, 7
	.set _Z19wiAtomicOnGlobalMemIdEvPT_i.num_named_barrier, 0
	.set _Z19wiAtomicOnGlobalMemIdEvPT_i.private_seg_size, 0
	.set _Z19wiAtomicOnGlobalMemIdEvPT_i.uses_vcc, 0
	.set _Z19wiAtomicOnGlobalMemIdEvPT_i.uses_flat_scratch, 0
	.set _Z19wiAtomicOnGlobalMemIdEvPT_i.has_dyn_sized_stack, 0
	.set _Z19wiAtomicOnGlobalMemIdEvPT_i.has_recursion, 0
	.set _Z19wiAtomicOnGlobalMemIdEvPT_i.has_indirect_call, 0
	.section	.AMDGPU.csdata,"",@progbits
; Kernel info:
; codeLenInByte = 196
; TotalNumSgprs: 7
; NumVgprs: 6
; ScratchSize: 0
; MemoryBound: 0
; FloatMode: 240
; IeeeMode: 1
; LDSByteSize: 0 bytes/workgroup (compile time only)
; SGPRBlocks: 0
; VGPRBlocks: 0
; NumSGPRsForWavesPerEU: 7
; NumVGPRsForWavesPerEU: 6
; NamedBarCnt: 0
; Occupancy: 16
; WaveLimiterHint : 0
; COMPUTE_PGM_RSRC2:SCRATCH_EN: 0
; COMPUTE_PGM_RSRC2:USER_SGPR: 2
; COMPUTE_PGM_RSRC2:TRAP_HANDLER: 0
; COMPUTE_PGM_RSRC2:TGID_X_EN: 1
; COMPUTE_PGM_RSRC2:TGID_Y_EN: 0
; COMPUTE_PGM_RSRC2:TGID_Z_EN: 0
; COMPUTE_PGM_RSRC2:TIDIG_COMP_CNT: 0
	.section	.text._Z19woAtomicOnGlobalMemIdEvPT_i,"axG",@progbits,_Z19woAtomicOnGlobalMemIdEvPT_i,comdat
	.protected	_Z19woAtomicOnGlobalMemIdEvPT_i ; -- Begin function _Z19woAtomicOnGlobalMemIdEvPT_i
	.globl	_Z19woAtomicOnGlobalMemIdEvPT_i
	.p2align	8
	.type	_Z19woAtomicOnGlobalMemIdEvPT_i,@function
_Z19woAtomicOnGlobalMemIdEvPT_i:        ; @_Z19woAtomicOnGlobalMemIdEvPT_i
; %bb.0:
	s_clause 0x1
	s_load_b32 s3, s[0:1], 0x1c
	s_load_b32 s2, s[0:1], 0x8
	s_bfe_u32 s4, ttmp6, 0x4000c
	s_and_b32 s5, ttmp6, 15
	s_add_co_i32 s4, s4, 1
	s_getreg_b32 s6, hwreg(HW_REG_IB_STS2, 6, 4)
	s_mul_i32 s4, ttmp9, s4
	s_delay_alu instid0(SALU_CYCLE_1) | instskip(SKIP_4) | instid1(SALU_CYCLE_1)
	s_add_co_i32 s5, s5, s4
	s_wait_kmcnt 0x0
	s_and_b32 s3, s3, 0xffff
	s_cmp_eq_u32 s6, 0
	s_cselect_b32 s4, ttmp9, s5
	v_mad_u32 v2, s4, s3, v0
	s_mov_b32 s3, exec_lo
	s_delay_alu instid0(VALU_DEP_1) | instskip(NEXT) | instid1(VALU_DEP_1)
	v_mul_lo_u32 v4, v2, s2
	v_add_nc_u32_e32 v0, s2, v4
	s_delay_alu instid0(VALU_DEP_1)
	v_cmpx_lt_u32_e64 v4, v0
	s_cbranch_execz .LBB1_4
; %bb.1:
	s_load_b64 s[0:1], s[0:1], 0x0
	v_mov_b32_e32 v3, 0
	s_wait_kmcnt 0x0
	global_load_b64 v[0:1], v2, s[0:1] scale_offset
	s_wait_xcnt 0x0
	v_lshl_add_u64 v[2:3], v[2:3], 3, s[0:1]
.LBB1_2:                                ; =>This Inner Loop Header: Depth=1
	v_dual_add_nc_u32 v4, 1, v4 :: v_dual_bitop2_b32 v5, 1, v4 bitop3:0x40
	s_add_co_i32 s2, s2, -1
	s_delay_alu instid0(SALU_CYCLE_1) | instskip(NEXT) | instid1(VALU_DEP_1)
	s_cmp_eq_u32 s2, 0
	v_cvt_f64_u32_e32 v[6:7], v5
	s_wait_loadcnt 0x0
	s_delay_alu instid0(VALU_DEP_1)
	v_add_f64_e32 v[0:1], v[0:1], v[6:7]
	s_cbranch_scc0 .LBB1_2
; %bb.3:
	global_store_b64 v[2:3], v[0:1], off
.LBB1_4:
	s_endpgm
	.section	.rodata,"a",@progbits
	.p2align	6, 0x0
	.amdhsa_kernel _Z19woAtomicOnGlobalMemIdEvPT_i
		.amdhsa_group_segment_fixed_size 0
		.amdhsa_private_segment_fixed_size 0
		.amdhsa_kernarg_size 272
		.amdhsa_user_sgpr_count 2
		.amdhsa_user_sgpr_dispatch_ptr 0
		.amdhsa_user_sgpr_queue_ptr 0
		.amdhsa_user_sgpr_kernarg_segment_ptr 1
		.amdhsa_user_sgpr_dispatch_id 0
		.amdhsa_user_sgpr_kernarg_preload_length 0
		.amdhsa_user_sgpr_kernarg_preload_offset 0
		.amdhsa_user_sgpr_private_segment_size 0
		.amdhsa_wavefront_size32 1
		.amdhsa_uses_dynamic_stack 0
		.amdhsa_enable_private_segment 0
		.amdhsa_system_sgpr_workgroup_id_x 1
		.amdhsa_system_sgpr_workgroup_id_y 0
		.amdhsa_system_sgpr_workgroup_id_z 0
		.amdhsa_system_sgpr_workgroup_info 0
		.amdhsa_system_vgpr_workitem_id 0
		.amdhsa_next_free_vgpr 8
		.amdhsa_next_free_sgpr 7
		.amdhsa_named_barrier_count 0
		.amdhsa_reserve_vcc 0
		.amdhsa_float_round_mode_32 0
		.amdhsa_float_round_mode_16_64 0
		.amdhsa_float_denorm_mode_32 3
		.amdhsa_float_denorm_mode_16_64 3
		.amdhsa_fp16_overflow 0
		.amdhsa_memory_ordered 1
		.amdhsa_forward_progress 1
		.amdhsa_inst_pref_size 2
		.amdhsa_round_robin_scheduling 0
		.amdhsa_exception_fp_ieee_invalid_op 0
		.amdhsa_exception_fp_denorm_src 0
		.amdhsa_exception_fp_ieee_div_zero 0
		.amdhsa_exception_fp_ieee_overflow 0
		.amdhsa_exception_fp_ieee_underflow 0
		.amdhsa_exception_fp_ieee_inexact 0
		.amdhsa_exception_int_div_zero 0
	.end_amdhsa_kernel
	.section	.text._Z19woAtomicOnGlobalMemIdEvPT_i,"axG",@progbits,_Z19woAtomicOnGlobalMemIdEvPT_i,comdat
.Lfunc_end1:
	.size	_Z19woAtomicOnGlobalMemIdEvPT_i, .Lfunc_end1-_Z19woAtomicOnGlobalMemIdEvPT_i
                                        ; -- End function
	.set _Z19woAtomicOnGlobalMemIdEvPT_i.num_vgpr, 8
	.set _Z19woAtomicOnGlobalMemIdEvPT_i.num_agpr, 0
	.set _Z19woAtomicOnGlobalMemIdEvPT_i.numbered_sgpr, 7
	.set _Z19woAtomicOnGlobalMemIdEvPT_i.num_named_barrier, 0
	.set _Z19woAtomicOnGlobalMemIdEvPT_i.private_seg_size, 0
	.set _Z19woAtomicOnGlobalMemIdEvPT_i.uses_vcc, 0
	.set _Z19woAtomicOnGlobalMemIdEvPT_i.uses_flat_scratch, 0
	.set _Z19woAtomicOnGlobalMemIdEvPT_i.has_dyn_sized_stack, 0
	.set _Z19woAtomicOnGlobalMemIdEvPT_i.has_recursion, 0
	.set _Z19woAtomicOnGlobalMemIdEvPT_i.has_indirect_call, 0
	.section	.AMDGPU.csdata,"",@progbits
; Kernel info:
; codeLenInByte = 216
; TotalNumSgprs: 7
; NumVgprs: 8
; ScratchSize: 0
; MemoryBound: 0
; FloatMode: 240
; IeeeMode: 1
; LDSByteSize: 0 bytes/workgroup (compile time only)
; SGPRBlocks: 0
; VGPRBlocks: 0
; NumSGPRsForWavesPerEU: 7
; NumVGPRsForWavesPerEU: 8
; NamedBarCnt: 0
; Occupancy: 16
; WaveLimiterHint : 0
; COMPUTE_PGM_RSRC2:SCRATCH_EN: 0
; COMPUTE_PGM_RSRC2:USER_SGPR: 2
; COMPUTE_PGM_RSRC2:TRAP_HANDLER: 0
; COMPUTE_PGM_RSRC2:TGID_X_EN: 1
; COMPUTE_PGM_RSRC2:TGID_Y_EN: 0
; COMPUTE_PGM_RSRC2:TGID_Z_EN: 0
; COMPUTE_PGM_RSRC2:TIDIG_COMP_CNT: 0
	.section	.text._Z19wiAtomicOnGlobalMemIiEvPT_i,"axG",@progbits,_Z19wiAtomicOnGlobalMemIiEvPT_i,comdat
	.protected	_Z19wiAtomicOnGlobalMemIiEvPT_i ; -- Begin function _Z19wiAtomicOnGlobalMemIiEvPT_i
	.globl	_Z19wiAtomicOnGlobalMemIiEvPT_i
	.p2align	8
	.type	_Z19wiAtomicOnGlobalMemIiEvPT_i,@function
_Z19wiAtomicOnGlobalMemIiEvPT_i:        ; @_Z19wiAtomicOnGlobalMemIiEvPT_i
; %bb.0:
	s_clause 0x1
	s_load_b32 s3, s[0:1], 0x1c
	s_load_b32 s2, s[0:1], 0x8
	s_bfe_u32 s4, ttmp6, 0x4000c
	s_and_b32 s5, ttmp6, 15
	s_add_co_i32 s4, s4, 1
	s_getreg_b32 s6, hwreg(HW_REG_IB_STS2, 6, 4)
	s_mul_i32 s4, ttmp9, s4
	s_delay_alu instid0(SALU_CYCLE_1) | instskip(SKIP_4) | instid1(SALU_CYCLE_1)
	s_add_co_i32 s5, s5, s4
	s_wait_kmcnt 0x0
	s_and_b32 s3, s3, 0xffff
	s_cmp_eq_u32 s6, 0
	s_cselect_b32 s4, ttmp9, s5
	v_mad_u32 v0, s4, s3, v0
	s_mov_b32 s3, exec_lo
	s_delay_alu instid0(VALU_DEP_1) | instskip(NEXT) | instid1(VALU_DEP_1)
	v_mul_lo_u32 v2, v0, s2
	v_add_nc_u32_e32 v1, s2, v2
	s_delay_alu instid0(VALU_DEP_1)
	v_cmpx_lt_u32_e64 v2, v1
	s_cbranch_execz .LBB2_3
; %bb.1:
	s_load_b64 s[0:1], s[0:1], 0x0
	v_mov_b32_e32 v1, 0
	s_wait_kmcnt 0x0
	s_delay_alu instid0(VALU_DEP_1)
	v_lshl_add_u64 v[0:1], v[0:1], 2, s[0:1]
.LBB2_2:                                ; =>This Inner Loop Header: Depth=1
	s_wait_xcnt 0x0
	v_dual_add_nc_u32 v2, 1, v2 :: v_dual_bitop2_b32 v3, 1, v2 bitop3:0x40
	s_add_co_i32 s2, s2, -1
	s_delay_alu instid0(SALU_CYCLE_1)
	s_cmp_eq_u32 s2, 0
	global_atomic_add_u32 v[0:1], v3, off scope:SCOPE_DEV
	s_cbranch_scc0 .LBB2_2
.LBB2_3:
	s_endpgm
	.section	.rodata,"a",@progbits
	.p2align	6, 0x0
	.amdhsa_kernel _Z19wiAtomicOnGlobalMemIiEvPT_i
		.amdhsa_group_segment_fixed_size 0
		.amdhsa_private_segment_fixed_size 0
		.amdhsa_kernarg_size 272
		.amdhsa_user_sgpr_count 2
		.amdhsa_user_sgpr_dispatch_ptr 0
		.amdhsa_user_sgpr_queue_ptr 0
		.amdhsa_user_sgpr_kernarg_segment_ptr 1
		.amdhsa_user_sgpr_dispatch_id 0
		.amdhsa_user_sgpr_kernarg_preload_length 0
		.amdhsa_user_sgpr_kernarg_preload_offset 0
		.amdhsa_user_sgpr_private_segment_size 0
		.amdhsa_wavefront_size32 1
		.amdhsa_uses_dynamic_stack 0
		.amdhsa_enable_private_segment 0
		.amdhsa_system_sgpr_workgroup_id_x 1
		.amdhsa_system_sgpr_workgroup_id_y 0
		.amdhsa_system_sgpr_workgroup_id_z 0
		.amdhsa_system_sgpr_workgroup_info 0
		.amdhsa_system_vgpr_workitem_id 0
		.amdhsa_next_free_vgpr 4
		.amdhsa_next_free_sgpr 7
		.amdhsa_named_barrier_count 0
		.amdhsa_reserve_vcc 0
		.amdhsa_float_round_mode_32 0
		.amdhsa_float_round_mode_16_64 0
		.amdhsa_float_denorm_mode_32 3
		.amdhsa_float_denorm_mode_16_64 3
		.amdhsa_fp16_overflow 0
		.amdhsa_memory_ordered 1
		.amdhsa_forward_progress 1
		.amdhsa_inst_pref_size 2
		.amdhsa_round_robin_scheduling 0
		.amdhsa_exception_fp_ieee_invalid_op 0
		.amdhsa_exception_fp_denorm_src 0
		.amdhsa_exception_fp_ieee_div_zero 0
		.amdhsa_exception_fp_ieee_overflow 0
		.amdhsa_exception_fp_ieee_underflow 0
		.amdhsa_exception_fp_ieee_inexact 0
		.amdhsa_exception_int_div_zero 0
	.end_amdhsa_kernel
	.section	.text._Z19wiAtomicOnGlobalMemIiEvPT_i,"axG",@progbits,_Z19wiAtomicOnGlobalMemIiEvPT_i,comdat
.Lfunc_end2:
	.size	_Z19wiAtomicOnGlobalMemIiEvPT_i, .Lfunc_end2-_Z19wiAtomicOnGlobalMemIiEvPT_i
                                        ; -- End function
	.set _Z19wiAtomicOnGlobalMemIiEvPT_i.num_vgpr, 4
	.set _Z19wiAtomicOnGlobalMemIiEvPT_i.num_agpr, 0
	.set _Z19wiAtomicOnGlobalMemIiEvPT_i.numbered_sgpr, 7
	.set _Z19wiAtomicOnGlobalMemIiEvPT_i.num_named_barrier, 0
	.set _Z19wiAtomicOnGlobalMemIiEvPT_i.private_seg_size, 0
	.set _Z19wiAtomicOnGlobalMemIiEvPT_i.uses_vcc, 0
	.set _Z19wiAtomicOnGlobalMemIiEvPT_i.uses_flat_scratch, 0
	.set _Z19wiAtomicOnGlobalMemIiEvPT_i.has_dyn_sized_stack, 0
	.set _Z19wiAtomicOnGlobalMemIiEvPT_i.has_recursion, 0
	.set _Z19wiAtomicOnGlobalMemIiEvPT_i.has_indirect_call, 0
	.section	.AMDGPU.csdata,"",@progbits
; Kernel info:
; codeLenInByte = 192
; TotalNumSgprs: 7
; NumVgprs: 4
; ScratchSize: 0
; MemoryBound: 0
; FloatMode: 240
; IeeeMode: 1
; LDSByteSize: 0 bytes/workgroup (compile time only)
; SGPRBlocks: 0
; VGPRBlocks: 0
; NumSGPRsForWavesPerEU: 7
; NumVGPRsForWavesPerEU: 4
; NamedBarCnt: 0
; Occupancy: 16
; WaveLimiterHint : 0
; COMPUTE_PGM_RSRC2:SCRATCH_EN: 0
; COMPUTE_PGM_RSRC2:USER_SGPR: 2
; COMPUTE_PGM_RSRC2:TRAP_HANDLER: 0
; COMPUTE_PGM_RSRC2:TGID_X_EN: 1
; COMPUTE_PGM_RSRC2:TGID_Y_EN: 0
; COMPUTE_PGM_RSRC2:TGID_Z_EN: 0
; COMPUTE_PGM_RSRC2:TIDIG_COMP_CNT: 0
	.section	.text._Z19woAtomicOnGlobalMemIiEvPT_i,"axG",@progbits,_Z19woAtomicOnGlobalMemIiEvPT_i,comdat
	.protected	_Z19woAtomicOnGlobalMemIiEvPT_i ; -- Begin function _Z19woAtomicOnGlobalMemIiEvPT_i
	.globl	_Z19woAtomicOnGlobalMemIiEvPT_i
	.p2align	8
	.type	_Z19woAtomicOnGlobalMemIiEvPT_i,@function
_Z19woAtomicOnGlobalMemIiEvPT_i:        ; @_Z19woAtomicOnGlobalMemIiEvPT_i
; %bb.0:
	s_clause 0x1
	s_load_b32 s3, s[0:1], 0x1c
	s_load_b32 s2, s[0:1], 0x8
	s_bfe_u32 s4, ttmp6, 0x4000c
	s_and_b32 s5, ttmp6, 15
	s_add_co_i32 s4, s4, 1
	s_getreg_b32 s6, hwreg(HW_REG_IB_STS2, 6, 4)
	s_mul_i32 s4, ttmp9, s4
	s_delay_alu instid0(SALU_CYCLE_1) | instskip(SKIP_4) | instid1(SALU_CYCLE_1)
	s_add_co_i32 s5, s5, s4
	s_wait_kmcnt 0x0
	s_and_b32 s3, s3, 0xffff
	s_cmp_eq_u32 s6, 0
	s_cselect_b32 s4, ttmp9, s5
	v_mad_u32 v2, s4, s3, v0
	s_mov_b32 s3, exec_lo
	s_delay_alu instid0(VALU_DEP_1) | instskip(NEXT) | instid1(VALU_DEP_1)
	v_mul_lo_u32 v0, v2, s2
	v_add_nc_u32_e32 v6, s2, v0
	s_delay_alu instid0(VALU_DEP_1)
	v_cmpx_lt_u32_e64 v0, v6
	s_cbranch_execz .LBB3_10
; %bb.1:
	s_load_b64 s[0:1], s[0:1], 0x0
	v_mov_b32_e32 v3, 0
	s_cmp_lt_u32 s2, 2
	s_wait_kmcnt 0x0
	global_load_b32 v7, v2, s[0:1] scale_offset
	s_cbranch_scc1 .LBB3_5
; %bb.2:
	v_add_nc_u32_e32 v1, 1, v0
	s_and_b32 s3, s2, -2
	s_delay_alu instid0(SALU_CYCLE_1) | instskip(NEXT) | instid1(VALU_DEP_1)
	s_mov_b32 s4, s3
	v_mov_b64_e32 v[4:5], v[0:1]
	v_mov_b32_e32 v1, v3
.LBB3_3:                                ; =>This Inner Loop Header: Depth=1
	s_delay_alu instid0(VALU_DEP_2) | instskip(NEXT) | instid1(VALU_DEP_3)
	v_dual_add_nc_u32 v5, 2, v5 :: v_dual_bitop2_b32 v8, 1, v5 bitop3:0x40
	v_dual_add_nc_u32 v4, 2, v4 :: v_dual_bitop2_b32 v9, 1, v4 bitop3:0x40
	s_add_co_i32 s4, s4, -2
	s_delay_alu instid0(VALU_DEP_2)
	v_add_nc_u32_e32 v1, v1, v8
	s_cmp_lg_u32 s4, 0
	s_wait_loadcnt 0x0
	v_add_nc_u32_e32 v7, v7, v9
	s_cbranch_scc1 .LBB3_3
; %bb.4:
	s_cmp_lg_u32 s2, s3
	s_delay_alu instid0(VALU_DEP_1)
	v_dual_add_nc_u32 v0, s3, v0 :: v_dual_add_nc_u32 v7, v7, v1
	s_cselect_b32 s2, -1, 0
	v_lshl_add_u64 v[2:3], v[2:3], 2, s[0:1]
	s_and_b32 vcc_lo, exec_lo, s2
	s_cbranch_vccnz .LBB3_6
	s_branch .LBB3_9
.LBB3_5:
	s_wait_xcnt 0x0
	v_lshl_add_u64 v[2:3], v[2:3], 2, s[0:1]
	s_cbranch_execz .LBB3_9
.LBB3_6:
	s_mov_b32 s0, 0
.LBB3_7:                                ; =>This Inner Loop Header: Depth=1
	v_dual_add_nc_u32 v0, 1, v0 :: v_dual_bitop2_b32 v1, 1, v0 bitop3:0x40
	s_wait_loadcnt 0x0
	s_delay_alu instid0(VALU_DEP_1) | instskip(NEXT) | instid1(VALU_DEP_2)
	v_add_nc_u32_e32 v7, v7, v1
	v_cmp_eq_u32_e32 vcc_lo, v6, v0
	s_or_b32 s0, vcc_lo, s0
	s_delay_alu instid0(SALU_CYCLE_1)
	s_and_not1_b32 exec_lo, exec_lo, s0
	s_cbranch_execnz .LBB3_7
; %bb.8:
	s_or_b32 exec_lo, exec_lo, s0
.LBB3_9:
	s_wait_loadcnt 0x0
	global_store_b32 v[2:3], v7, off
.LBB3_10:
	s_endpgm
	.section	.rodata,"a",@progbits
	.p2align	6, 0x0
	.amdhsa_kernel _Z19woAtomicOnGlobalMemIiEvPT_i
		.amdhsa_group_segment_fixed_size 0
		.amdhsa_private_segment_fixed_size 0
		.amdhsa_kernarg_size 272
		.amdhsa_user_sgpr_count 2
		.amdhsa_user_sgpr_dispatch_ptr 0
		.amdhsa_user_sgpr_queue_ptr 0
		.amdhsa_user_sgpr_kernarg_segment_ptr 1
		.amdhsa_user_sgpr_dispatch_id 0
		.amdhsa_user_sgpr_kernarg_preload_length 0
		.amdhsa_user_sgpr_kernarg_preload_offset 0
		.amdhsa_user_sgpr_private_segment_size 0
		.amdhsa_wavefront_size32 1
		.amdhsa_uses_dynamic_stack 0
		.amdhsa_enable_private_segment 0
		.amdhsa_system_sgpr_workgroup_id_x 1
		.amdhsa_system_sgpr_workgroup_id_y 0
		.amdhsa_system_sgpr_workgroup_id_z 0
		.amdhsa_system_sgpr_workgroup_info 0
		.amdhsa_system_vgpr_workitem_id 0
		.amdhsa_next_free_vgpr 10
		.amdhsa_next_free_sgpr 7
		.amdhsa_named_barrier_count 0
		.amdhsa_reserve_vcc 1
		.amdhsa_float_round_mode_32 0
		.amdhsa_float_round_mode_16_64 0
		.amdhsa_float_denorm_mode_32 3
		.amdhsa_float_denorm_mode_16_64 3
		.amdhsa_fp16_overflow 0
		.amdhsa_memory_ordered 1
		.amdhsa_forward_progress 1
		.amdhsa_inst_pref_size 3
		.amdhsa_round_robin_scheduling 0
		.amdhsa_exception_fp_ieee_invalid_op 0
		.amdhsa_exception_fp_denorm_src 0
		.amdhsa_exception_fp_ieee_div_zero 0
		.amdhsa_exception_fp_ieee_overflow 0
		.amdhsa_exception_fp_ieee_underflow 0
		.amdhsa_exception_fp_ieee_inexact 0
		.amdhsa_exception_int_div_zero 0
	.end_amdhsa_kernel
	.section	.text._Z19woAtomicOnGlobalMemIiEvPT_i,"axG",@progbits,_Z19woAtomicOnGlobalMemIiEvPT_i,comdat
.Lfunc_end3:
	.size	_Z19woAtomicOnGlobalMemIiEvPT_i, .Lfunc_end3-_Z19woAtomicOnGlobalMemIiEvPT_i
                                        ; -- End function
	.set _Z19woAtomicOnGlobalMemIiEvPT_i.num_vgpr, 10
	.set _Z19woAtomicOnGlobalMemIiEvPT_i.num_agpr, 0
	.set _Z19woAtomicOnGlobalMemIiEvPT_i.numbered_sgpr, 7
	.set _Z19woAtomicOnGlobalMemIiEvPT_i.num_named_barrier, 0
	.set _Z19woAtomicOnGlobalMemIiEvPT_i.private_seg_size, 0
	.set _Z19woAtomicOnGlobalMemIiEvPT_i.uses_vcc, 1
	.set _Z19woAtomicOnGlobalMemIiEvPT_i.uses_flat_scratch, 0
	.set _Z19woAtomicOnGlobalMemIiEvPT_i.has_dyn_sized_stack, 0
	.set _Z19woAtomicOnGlobalMemIiEvPT_i.has_recursion, 0
	.set _Z19woAtomicOnGlobalMemIiEvPT_i.has_indirect_call, 0
	.section	.AMDGPU.csdata,"",@progbits
; Kernel info:
; codeLenInByte = 364
; TotalNumSgprs: 9
; NumVgprs: 10
; ScratchSize: 0
; MemoryBound: 0
; FloatMode: 240
; IeeeMode: 1
; LDSByteSize: 0 bytes/workgroup (compile time only)
; SGPRBlocks: 0
; VGPRBlocks: 0
; NumSGPRsForWavesPerEU: 9
; NumVGPRsForWavesPerEU: 10
; NamedBarCnt: 0
; Occupancy: 16
; WaveLimiterHint : 0
; COMPUTE_PGM_RSRC2:SCRATCH_EN: 0
; COMPUTE_PGM_RSRC2:USER_SGPR: 2
; COMPUTE_PGM_RSRC2:TRAP_HANDLER: 0
; COMPUTE_PGM_RSRC2:TGID_X_EN: 1
; COMPUTE_PGM_RSRC2:TGID_Y_EN: 0
; COMPUTE_PGM_RSRC2:TGID_Z_EN: 0
; COMPUTE_PGM_RSRC2:TIDIG_COMP_CNT: 0
	.section	.text._Z19wiAtomicOnGlobalMemIfEvPT_i,"axG",@progbits,_Z19wiAtomicOnGlobalMemIfEvPT_i,comdat
	.protected	_Z19wiAtomicOnGlobalMemIfEvPT_i ; -- Begin function _Z19wiAtomicOnGlobalMemIfEvPT_i
	.globl	_Z19wiAtomicOnGlobalMemIfEvPT_i
	.p2align	8
	.type	_Z19wiAtomicOnGlobalMemIfEvPT_i,@function
_Z19wiAtomicOnGlobalMemIfEvPT_i:        ; @_Z19wiAtomicOnGlobalMemIfEvPT_i
; %bb.0:
	s_clause 0x1
	s_load_b32 s3, s[0:1], 0x1c
	s_load_b32 s2, s[0:1], 0x8
	s_bfe_u32 s4, ttmp6, 0x4000c
	s_and_b32 s5, ttmp6, 15
	s_add_co_i32 s4, s4, 1
	s_getreg_b32 s6, hwreg(HW_REG_IB_STS2, 6, 4)
	s_mul_i32 s4, ttmp9, s4
	s_delay_alu instid0(SALU_CYCLE_1) | instskip(SKIP_4) | instid1(SALU_CYCLE_1)
	s_add_co_i32 s5, s5, s4
	s_wait_kmcnt 0x0
	s_and_b32 s3, s3, 0xffff
	s_cmp_eq_u32 s6, 0
	s_cselect_b32 s4, ttmp9, s5
	v_mad_u32 v0, s4, s3, v0
	s_mov_b32 s3, exec_lo
	s_delay_alu instid0(VALU_DEP_1) | instskip(NEXT) | instid1(VALU_DEP_1)
	v_mul_lo_u32 v2, v0, s2
	v_add_nc_u32_e32 v1, s2, v2
	s_delay_alu instid0(VALU_DEP_1)
	v_cmpx_lt_u32_e64 v2, v1
	s_cbranch_execz .LBB4_3
; %bb.1:
	s_load_b64 s[0:1], s[0:1], 0x0
	v_mov_b32_e32 v1, 0
	s_wait_kmcnt 0x0
	s_delay_alu instid0(VALU_DEP_1)
	v_lshl_add_u64 v[0:1], v[0:1], 2, s[0:1]
.LBB4_2:                                ; =>This Inner Loop Header: Depth=1
	s_wait_xcnt 0x0
	v_dual_add_nc_u32 v2, 1, v2 :: v_dual_bitop2_b32 v3, 1, v2 bitop3:0x40
	s_add_co_i32 s2, s2, -1
	s_delay_alu instid0(SALU_CYCLE_1) | instskip(NEXT) | instid1(VALU_DEP_1)
	s_cmp_eq_u32 s2, 0
	v_cvt_f32_ubyte0_e32 v3, v3
	global_atomic_add_f32 v[0:1], v3, off scope:SCOPE_DEV
	s_cbranch_scc0 .LBB4_2
.LBB4_3:
	s_endpgm
	.section	.rodata,"a",@progbits
	.p2align	6, 0x0
	.amdhsa_kernel _Z19wiAtomicOnGlobalMemIfEvPT_i
		.amdhsa_group_segment_fixed_size 0
		.amdhsa_private_segment_fixed_size 0
		.amdhsa_kernarg_size 272
		.amdhsa_user_sgpr_count 2
		.amdhsa_user_sgpr_dispatch_ptr 0
		.amdhsa_user_sgpr_queue_ptr 0
		.amdhsa_user_sgpr_kernarg_segment_ptr 1
		.amdhsa_user_sgpr_dispatch_id 0
		.amdhsa_user_sgpr_kernarg_preload_length 0
		.amdhsa_user_sgpr_kernarg_preload_offset 0
		.amdhsa_user_sgpr_private_segment_size 0
		.amdhsa_wavefront_size32 1
		.amdhsa_uses_dynamic_stack 0
		.amdhsa_enable_private_segment 0
		.amdhsa_system_sgpr_workgroup_id_x 1
		.amdhsa_system_sgpr_workgroup_id_y 0
		.amdhsa_system_sgpr_workgroup_id_z 0
		.amdhsa_system_sgpr_workgroup_info 0
		.amdhsa_system_vgpr_workitem_id 0
		.amdhsa_next_free_vgpr 4
		.amdhsa_next_free_sgpr 7
		.amdhsa_named_barrier_count 0
		.amdhsa_reserve_vcc 0
		.amdhsa_float_round_mode_32 0
		.amdhsa_float_round_mode_16_64 0
		.amdhsa_float_denorm_mode_32 3
		.amdhsa_float_denorm_mode_16_64 3
		.amdhsa_fp16_overflow 0
		.amdhsa_memory_ordered 1
		.amdhsa_forward_progress 1
		.amdhsa_inst_pref_size 2
		.amdhsa_round_robin_scheduling 0
		.amdhsa_exception_fp_ieee_invalid_op 0
		.amdhsa_exception_fp_denorm_src 0
		.amdhsa_exception_fp_ieee_div_zero 0
		.amdhsa_exception_fp_ieee_overflow 0
		.amdhsa_exception_fp_ieee_underflow 0
		.amdhsa_exception_fp_ieee_inexact 0
		.amdhsa_exception_int_div_zero 0
	.end_amdhsa_kernel
	.section	.text._Z19wiAtomicOnGlobalMemIfEvPT_i,"axG",@progbits,_Z19wiAtomicOnGlobalMemIfEvPT_i,comdat
.Lfunc_end4:
	.size	_Z19wiAtomicOnGlobalMemIfEvPT_i, .Lfunc_end4-_Z19wiAtomicOnGlobalMemIfEvPT_i
                                        ; -- End function
	.set _Z19wiAtomicOnGlobalMemIfEvPT_i.num_vgpr, 4
	.set _Z19wiAtomicOnGlobalMemIfEvPT_i.num_agpr, 0
	.set _Z19wiAtomicOnGlobalMemIfEvPT_i.numbered_sgpr, 7
	.set _Z19wiAtomicOnGlobalMemIfEvPT_i.num_named_barrier, 0
	.set _Z19wiAtomicOnGlobalMemIfEvPT_i.private_seg_size, 0
	.set _Z19wiAtomicOnGlobalMemIfEvPT_i.uses_vcc, 0
	.set _Z19wiAtomicOnGlobalMemIfEvPT_i.uses_flat_scratch, 0
	.set _Z19wiAtomicOnGlobalMemIfEvPT_i.has_dyn_sized_stack, 0
	.set _Z19wiAtomicOnGlobalMemIfEvPT_i.has_recursion, 0
	.set _Z19wiAtomicOnGlobalMemIfEvPT_i.has_indirect_call, 0
	.section	.AMDGPU.csdata,"",@progbits
; Kernel info:
; codeLenInByte = 196
; TotalNumSgprs: 7
; NumVgprs: 4
; ScratchSize: 0
; MemoryBound: 0
; FloatMode: 240
; IeeeMode: 1
; LDSByteSize: 0 bytes/workgroup (compile time only)
; SGPRBlocks: 0
; VGPRBlocks: 0
; NumSGPRsForWavesPerEU: 7
; NumVGPRsForWavesPerEU: 4
; NamedBarCnt: 0
; Occupancy: 16
; WaveLimiterHint : 0
; COMPUTE_PGM_RSRC2:SCRATCH_EN: 0
; COMPUTE_PGM_RSRC2:USER_SGPR: 2
; COMPUTE_PGM_RSRC2:TRAP_HANDLER: 0
; COMPUTE_PGM_RSRC2:TGID_X_EN: 1
; COMPUTE_PGM_RSRC2:TGID_Y_EN: 0
; COMPUTE_PGM_RSRC2:TGID_Z_EN: 0
; COMPUTE_PGM_RSRC2:TIDIG_COMP_CNT: 0
	.section	.text._Z19woAtomicOnGlobalMemIfEvPT_i,"axG",@progbits,_Z19woAtomicOnGlobalMemIfEvPT_i,comdat
	.protected	_Z19woAtomicOnGlobalMemIfEvPT_i ; -- Begin function _Z19woAtomicOnGlobalMemIfEvPT_i
	.globl	_Z19woAtomicOnGlobalMemIfEvPT_i
	.p2align	8
	.type	_Z19woAtomicOnGlobalMemIfEvPT_i,@function
_Z19woAtomicOnGlobalMemIfEvPT_i:        ; @_Z19woAtomicOnGlobalMemIfEvPT_i
; %bb.0:
	s_clause 0x1
	s_load_b32 s3, s[0:1], 0x1c
	s_load_b32 s2, s[0:1], 0x8
	s_bfe_u32 s4, ttmp6, 0x4000c
	s_and_b32 s5, ttmp6, 15
	s_add_co_i32 s4, s4, 1
	s_getreg_b32 s6, hwreg(HW_REG_IB_STS2, 6, 4)
	s_mul_i32 s4, ttmp9, s4
	s_delay_alu instid0(SALU_CYCLE_1) | instskip(SKIP_4) | instid1(SALU_CYCLE_1)
	s_add_co_i32 s5, s5, s4
	s_wait_kmcnt 0x0
	s_and_b32 s3, s3, 0xffff
	s_cmp_eq_u32 s6, 0
	s_cselect_b32 s4, ttmp9, s5
	v_mad_u32 v0, s4, s3, v0
	s_mov_b32 s3, exec_lo
	s_delay_alu instid0(VALU_DEP_1) | instskip(NEXT) | instid1(VALU_DEP_1)
	v_mul_lo_u32 v2, v0, s2
	v_add_nc_u32_e32 v1, s2, v2
	s_delay_alu instid0(VALU_DEP_1)
	v_cmpx_lt_u32_e64 v2, v1
	s_cbranch_execz .LBB5_4
; %bb.1:
	s_load_b64 s[0:1], s[0:1], 0x0
	v_mov_b32_e32 v1, 0
	s_wait_kmcnt 0x0
	global_load_b32 v3, v0, s[0:1] scale_offset
	s_wait_xcnt 0x0
	v_lshl_add_u64 v[0:1], v[0:1], 2, s[0:1]
.LBB5_2:                                ; =>This Inner Loop Header: Depth=1
	v_dual_add_nc_u32 v2, 1, v2 :: v_dual_bitop2_b32 v4, 1, v2 bitop3:0x40
	s_add_co_i32 s2, s2, -1
	s_delay_alu instid0(SALU_CYCLE_1) | instskip(NEXT) | instid1(VALU_DEP_1)
	s_cmp_eq_u32 s2, 0
	v_cvt_f32_ubyte0_e32 v4, v4
	s_wait_loadcnt 0x0
	s_delay_alu instid0(VALU_DEP_1)
	v_add_f32_e32 v3, v3, v4
	s_cbranch_scc0 .LBB5_2
; %bb.3:
	global_store_b32 v[0:1], v3, off
.LBB5_4:
	s_endpgm
	.section	.rodata,"a",@progbits
	.p2align	6, 0x0
	.amdhsa_kernel _Z19woAtomicOnGlobalMemIfEvPT_i
		.amdhsa_group_segment_fixed_size 0
		.amdhsa_private_segment_fixed_size 0
		.amdhsa_kernarg_size 272
		.amdhsa_user_sgpr_count 2
		.amdhsa_user_sgpr_dispatch_ptr 0
		.amdhsa_user_sgpr_queue_ptr 0
		.amdhsa_user_sgpr_kernarg_segment_ptr 1
		.amdhsa_user_sgpr_dispatch_id 0
		.amdhsa_user_sgpr_kernarg_preload_length 0
		.amdhsa_user_sgpr_kernarg_preload_offset 0
		.amdhsa_user_sgpr_private_segment_size 0
		.amdhsa_wavefront_size32 1
		.amdhsa_uses_dynamic_stack 0
		.amdhsa_enable_private_segment 0
		.amdhsa_system_sgpr_workgroup_id_x 1
		.amdhsa_system_sgpr_workgroup_id_y 0
		.amdhsa_system_sgpr_workgroup_id_z 0
		.amdhsa_system_sgpr_workgroup_info 0
		.amdhsa_system_vgpr_workitem_id 0
		.amdhsa_next_free_vgpr 5
		.amdhsa_next_free_sgpr 7
		.amdhsa_named_barrier_count 0
		.amdhsa_reserve_vcc 0
		.amdhsa_float_round_mode_32 0
		.amdhsa_float_round_mode_16_64 0
		.amdhsa_float_denorm_mode_32 3
		.amdhsa_float_denorm_mode_16_64 3
		.amdhsa_fp16_overflow 0
		.amdhsa_memory_ordered 1
		.amdhsa_forward_progress 1
		.amdhsa_inst_pref_size 2
		.amdhsa_round_robin_scheduling 0
		.amdhsa_exception_fp_ieee_invalid_op 0
		.amdhsa_exception_fp_denorm_src 0
		.amdhsa_exception_fp_ieee_div_zero 0
		.amdhsa_exception_fp_ieee_overflow 0
		.amdhsa_exception_fp_ieee_underflow 0
		.amdhsa_exception_fp_ieee_inexact 0
		.amdhsa_exception_int_div_zero 0
	.end_amdhsa_kernel
	.section	.text._Z19woAtomicOnGlobalMemIfEvPT_i,"axG",@progbits,_Z19woAtomicOnGlobalMemIfEvPT_i,comdat
.Lfunc_end5:
	.size	_Z19woAtomicOnGlobalMemIfEvPT_i, .Lfunc_end5-_Z19woAtomicOnGlobalMemIfEvPT_i
                                        ; -- End function
	.set _Z19woAtomicOnGlobalMemIfEvPT_i.num_vgpr, 5
	.set _Z19woAtomicOnGlobalMemIfEvPT_i.num_agpr, 0
	.set _Z19woAtomicOnGlobalMemIfEvPT_i.numbered_sgpr, 7
	.set _Z19woAtomicOnGlobalMemIfEvPT_i.num_named_barrier, 0
	.set _Z19woAtomicOnGlobalMemIfEvPT_i.private_seg_size, 0
	.set _Z19woAtomicOnGlobalMemIfEvPT_i.uses_vcc, 0
	.set _Z19woAtomicOnGlobalMemIfEvPT_i.uses_flat_scratch, 0
	.set _Z19woAtomicOnGlobalMemIfEvPT_i.has_dyn_sized_stack, 0
	.set _Z19woAtomicOnGlobalMemIfEvPT_i.has_recursion, 0
	.set _Z19woAtomicOnGlobalMemIfEvPT_i.has_indirect_call, 0
	.section	.AMDGPU.csdata,"",@progbits
; Kernel info:
; codeLenInByte = 216
; TotalNumSgprs: 7
; NumVgprs: 5
; ScratchSize: 0
; MemoryBound: 0
; FloatMode: 240
; IeeeMode: 1
; LDSByteSize: 0 bytes/workgroup (compile time only)
; SGPRBlocks: 0
; VGPRBlocks: 0
; NumSGPRsForWavesPerEU: 7
; NumVGPRsForWavesPerEU: 5
; NamedBarCnt: 0
; Occupancy: 16
; WaveLimiterHint : 0
; COMPUTE_PGM_RSRC2:SCRATCH_EN: 0
; COMPUTE_PGM_RSRC2:USER_SGPR: 2
; COMPUTE_PGM_RSRC2:TRAP_HANDLER: 0
; COMPUTE_PGM_RSRC2:TGID_X_EN: 1
; COMPUTE_PGM_RSRC2:TGID_Y_EN: 0
; COMPUTE_PGM_RSRC2:TGID_Z_EN: 0
; COMPUTE_PGM_RSRC2:TIDIG_COMP_CNT: 0
	.section	.AMDGPU.gpr_maximums,"",@progbits
	.set amdgpu.max_num_vgpr, 0
	.set amdgpu.max_num_agpr, 0
	.set amdgpu.max_num_sgpr, 0
	.section	.AMDGPU.csdata,"",@progbits
	.type	__hip_cuid_fc7eec96c41c4aa,@object ; @__hip_cuid_fc7eec96c41c4aa
	.section	.bss,"aw",@nobits
	.globl	__hip_cuid_fc7eec96c41c4aa
__hip_cuid_fc7eec96c41c4aa:
	.byte	0                               ; 0x0
	.size	__hip_cuid_fc7eec96c41c4aa, 1

	.ident	"AMD clang version 22.0.0git (https://github.com/RadeonOpenCompute/llvm-project roc-7.2.4 26084 f58b06dce1f9c15707c5f808fd002e18c2accf7e)"
	.section	".note.GNU-stack","",@progbits
	.addrsig
	.addrsig_sym __hip_cuid_fc7eec96c41c4aa
	.amdgpu_metadata
---
amdhsa.kernels:
  - .args:
      - .address_space:  global
        .offset:         0
        .size:           8
        .value_kind:     global_buffer
      - .offset:         8
        .size:           4
        .value_kind:     by_value
      - .offset:         16
        .size:           4
        .value_kind:     hidden_block_count_x
      - .offset:         20
        .size:           4
        .value_kind:     hidden_block_count_y
      - .offset:         24
        .size:           4
        .value_kind:     hidden_block_count_z
      - .offset:         28
        .size:           2
        .value_kind:     hidden_group_size_x
      - .offset:         30
        .size:           2
        .value_kind:     hidden_group_size_y
      - .offset:         32
        .size:           2
        .value_kind:     hidden_group_size_z
      - .offset:         34
        .size:           2
        .value_kind:     hidden_remainder_x
      - .offset:         36
        .size:           2
        .value_kind:     hidden_remainder_y
      - .offset:         38
        .size:           2
        .value_kind:     hidden_remainder_z
      - .offset:         56
        .size:           8
        .value_kind:     hidden_global_offset_x
      - .offset:         64
        .size:           8
        .value_kind:     hidden_global_offset_y
      - .offset:         72
        .size:           8
        .value_kind:     hidden_global_offset_z
      - .offset:         80
        .size:           2
        .value_kind:     hidden_grid_dims
    .group_segment_fixed_size: 0
    .kernarg_segment_align: 8
    .kernarg_segment_size: 272
    .language:       OpenCL C
    .language_version:
      - 2
      - 0
    .max_flat_workgroup_size: 1024
    .name:           _Z19wiAtomicOnGlobalMemIdEvPT_i
    .private_segment_fixed_size: 0
    .sgpr_count:     7
    .sgpr_spill_count: 0
    .symbol:         _Z19wiAtomicOnGlobalMemIdEvPT_i.kd
    .uniform_work_group_size: 1
    .uses_dynamic_stack: false
    .vgpr_count:     6
    .vgpr_spill_count: 0
    .wavefront_size: 32
  - .args:
      - .address_space:  global
        .offset:         0
        .size:           8
        .value_kind:     global_buffer
      - .offset:         8
        .size:           4
        .value_kind:     by_value
      - .offset:         16
        .size:           4
        .value_kind:     hidden_block_count_x
      - .offset:         20
        .size:           4
        .value_kind:     hidden_block_count_y
      - .offset:         24
        .size:           4
        .value_kind:     hidden_block_count_z
      - .offset:         28
        .size:           2
        .value_kind:     hidden_group_size_x
      - .offset:         30
        .size:           2
        .value_kind:     hidden_group_size_y
      - .offset:         32
        .size:           2
        .value_kind:     hidden_group_size_z
      - .offset:         34
        .size:           2
        .value_kind:     hidden_remainder_x
      - .offset:         36
        .size:           2
        .value_kind:     hidden_remainder_y
      - .offset:         38
        .size:           2
        .value_kind:     hidden_remainder_z
      - .offset:         56
        .size:           8
        .value_kind:     hidden_global_offset_x
      - .offset:         64
        .size:           8
        .value_kind:     hidden_global_offset_y
      - .offset:         72
        .size:           8
        .value_kind:     hidden_global_offset_z
      - .offset:         80
        .size:           2
        .value_kind:     hidden_grid_dims
    .group_segment_fixed_size: 0
    .kernarg_segment_align: 8
    .kernarg_segment_size: 272
    .language:       OpenCL C
    .language_version:
      - 2
      - 0
    .max_flat_workgroup_size: 1024
    .name:           _Z19woAtomicOnGlobalMemIdEvPT_i
    .private_segment_fixed_size: 0
    .sgpr_count:     7
    .sgpr_spill_count: 0
    .symbol:         _Z19woAtomicOnGlobalMemIdEvPT_i.kd
    .uniform_work_group_size: 1
    .uses_dynamic_stack: false
    .vgpr_count:     8
    .vgpr_spill_count: 0
    .wavefront_size: 32
  - .args:
      - .address_space:  global
        .offset:         0
        .size:           8
        .value_kind:     global_buffer
      - .offset:         8
        .size:           4
        .value_kind:     by_value
      - .offset:         16
        .size:           4
        .value_kind:     hidden_block_count_x
      - .offset:         20
        .size:           4
        .value_kind:     hidden_block_count_y
      - .offset:         24
        .size:           4
        .value_kind:     hidden_block_count_z
      - .offset:         28
        .size:           2
        .value_kind:     hidden_group_size_x
      - .offset:         30
        .size:           2
        .value_kind:     hidden_group_size_y
      - .offset:         32
        .size:           2
        .value_kind:     hidden_group_size_z
      - .offset:         34
        .size:           2
        .value_kind:     hidden_remainder_x
      - .offset:         36
        .size:           2
        .value_kind:     hidden_remainder_y
      - .offset:         38
        .size:           2
        .value_kind:     hidden_remainder_z
      - .offset:         56
        .size:           8
        .value_kind:     hidden_global_offset_x
      - .offset:         64
        .size:           8
        .value_kind:     hidden_global_offset_y
      - .offset:         72
        .size:           8
        .value_kind:     hidden_global_offset_z
      - .offset:         80
        .size:           2
        .value_kind:     hidden_grid_dims
    .group_segment_fixed_size: 0
    .kernarg_segment_align: 8
    .kernarg_segment_size: 272
    .language:       OpenCL C
    .language_version:
      - 2
      - 0
    .max_flat_workgroup_size: 1024
    .name:           _Z19wiAtomicOnGlobalMemIiEvPT_i
    .private_segment_fixed_size: 0
    .sgpr_count:     7
    .sgpr_spill_count: 0
    .symbol:         _Z19wiAtomicOnGlobalMemIiEvPT_i.kd
    .uniform_work_group_size: 1
    .uses_dynamic_stack: false
    .vgpr_count:     4
    .vgpr_spill_count: 0
    .wavefront_size: 32
  - .args:
      - .address_space:  global
        .offset:         0
        .size:           8
        .value_kind:     global_buffer
      - .offset:         8
        .size:           4
        .value_kind:     by_value
      - .offset:         16
        .size:           4
        .value_kind:     hidden_block_count_x
      - .offset:         20
        .size:           4
        .value_kind:     hidden_block_count_y
      - .offset:         24
        .size:           4
        .value_kind:     hidden_block_count_z
      - .offset:         28
        .size:           2
        .value_kind:     hidden_group_size_x
      - .offset:         30
        .size:           2
        .value_kind:     hidden_group_size_y
      - .offset:         32
        .size:           2
        .value_kind:     hidden_group_size_z
      - .offset:         34
        .size:           2
        .value_kind:     hidden_remainder_x
      - .offset:         36
        .size:           2
        .value_kind:     hidden_remainder_y
      - .offset:         38
        .size:           2
        .value_kind:     hidden_remainder_z
      - .offset:         56
        .size:           8
        .value_kind:     hidden_global_offset_x
      - .offset:         64
        .size:           8
        .value_kind:     hidden_global_offset_y
      - .offset:         72
        .size:           8
        .value_kind:     hidden_global_offset_z
      - .offset:         80
        .size:           2
        .value_kind:     hidden_grid_dims
    .group_segment_fixed_size: 0
    .kernarg_segment_align: 8
    .kernarg_segment_size: 272
    .language:       OpenCL C
    .language_version:
      - 2
      - 0
    .max_flat_workgroup_size: 1024
    .name:           _Z19woAtomicOnGlobalMemIiEvPT_i
    .private_segment_fixed_size: 0
    .sgpr_count:     9
    .sgpr_spill_count: 0
    .symbol:         _Z19woAtomicOnGlobalMemIiEvPT_i.kd
    .uniform_work_group_size: 1
    .uses_dynamic_stack: false
    .vgpr_count:     10
    .vgpr_spill_count: 0
    .wavefront_size: 32
  - .args:
      - .address_space:  global
        .offset:         0
        .size:           8
        .value_kind:     global_buffer
      - .offset:         8
        .size:           4
        .value_kind:     by_value
      - .offset:         16
        .size:           4
        .value_kind:     hidden_block_count_x
      - .offset:         20
        .size:           4
        .value_kind:     hidden_block_count_y
      - .offset:         24
        .size:           4
        .value_kind:     hidden_block_count_z
      - .offset:         28
        .size:           2
        .value_kind:     hidden_group_size_x
      - .offset:         30
        .size:           2
        .value_kind:     hidden_group_size_y
      - .offset:         32
        .size:           2
        .value_kind:     hidden_group_size_z
      - .offset:         34
        .size:           2
        .value_kind:     hidden_remainder_x
      - .offset:         36
        .size:           2
        .value_kind:     hidden_remainder_y
      - .offset:         38
        .size:           2
        .value_kind:     hidden_remainder_z
      - .offset:         56
        .size:           8
        .value_kind:     hidden_global_offset_x
      - .offset:         64
        .size:           8
        .value_kind:     hidden_global_offset_y
      - .offset:         72
        .size:           8
        .value_kind:     hidden_global_offset_z
      - .offset:         80
        .size:           2
        .value_kind:     hidden_grid_dims
    .group_segment_fixed_size: 0
    .kernarg_segment_align: 8
    .kernarg_segment_size: 272
    .language:       OpenCL C
    .language_version:
      - 2
      - 0
    .max_flat_workgroup_size: 1024
    .name:           _Z19wiAtomicOnGlobalMemIfEvPT_i
    .private_segment_fixed_size: 0
    .sgpr_count:     7
    .sgpr_spill_count: 0
    .symbol:         _Z19wiAtomicOnGlobalMemIfEvPT_i.kd
    .uniform_work_group_size: 1
    .uses_dynamic_stack: false
    .vgpr_count:     4
    .vgpr_spill_count: 0
    .wavefront_size: 32
  - .args:
      - .address_space:  global
        .offset:         0
        .size:           8
        .value_kind:     global_buffer
      - .offset:         8
        .size:           4
        .value_kind:     by_value
      - .offset:         16
        .size:           4
        .value_kind:     hidden_block_count_x
      - .offset:         20
        .size:           4
        .value_kind:     hidden_block_count_y
      - .offset:         24
        .size:           4
        .value_kind:     hidden_block_count_z
      - .offset:         28
        .size:           2
        .value_kind:     hidden_group_size_x
      - .offset:         30
        .size:           2
        .value_kind:     hidden_group_size_y
      - .offset:         32
        .size:           2
        .value_kind:     hidden_group_size_z
      - .offset:         34
        .size:           2
        .value_kind:     hidden_remainder_x
      - .offset:         36
        .size:           2
        .value_kind:     hidden_remainder_y
      - .offset:         38
        .size:           2
        .value_kind:     hidden_remainder_z
      - .offset:         56
        .size:           8
        .value_kind:     hidden_global_offset_x
      - .offset:         64
        .size:           8
        .value_kind:     hidden_global_offset_y
      - .offset:         72
        .size:           8
        .value_kind:     hidden_global_offset_z
      - .offset:         80
        .size:           2
        .value_kind:     hidden_grid_dims
    .group_segment_fixed_size: 0
    .kernarg_segment_align: 8
    .kernarg_segment_size: 272
    .language:       OpenCL C
    .language_version:
      - 2
      - 0
    .max_flat_workgroup_size: 1024
    .name:           _Z19woAtomicOnGlobalMemIfEvPT_i
    .private_segment_fixed_size: 0
    .sgpr_count:     7
    .sgpr_spill_count: 0
    .symbol:         _Z19woAtomicOnGlobalMemIfEvPT_i.kd
    .uniform_work_group_size: 1
    .uses_dynamic_stack: false
    .vgpr_count:     5
    .vgpr_spill_count: 0
    .wavefront_size: 32
amdhsa.target:   amdgcn-amd-amdhsa--gfx1250
amdhsa.version:
  - 1
  - 2
...

	.end_amdgpu_metadata
